;; amdgpu-corpus repo=ROCm/rocFFT kind=compiled arch=gfx950 opt=O3
	.text
	.amdgcn_target "amdgcn-amd-amdhsa--gfx950"
	.amdhsa_code_object_version 6
	.protected	fft_rtc_back_len168_factors_2_7_6_2_wgs_168_tpt_14_halfLds_dim2_dp_op_CI_CI_sbcc_twdbase6_3step_dirReg_intrinsicReadWrite ; -- Begin function fft_rtc_back_len168_factors_2_7_6_2_wgs_168_tpt_14_halfLds_dim2_dp_op_CI_CI_sbcc_twdbase6_3step_dirReg_intrinsicReadWrite
	.globl	fft_rtc_back_len168_factors_2_7_6_2_wgs_168_tpt_14_halfLds_dim2_dp_op_CI_CI_sbcc_twdbase6_3step_dirReg_intrinsicReadWrite
	.p2align	8
	.type	fft_rtc_back_len168_factors_2_7_6_2_wgs_168_tpt_14_halfLds_dim2_dp_op_CI_CI_sbcc_twdbase6_3step_dirReg_intrinsicReadWrite,@function
fft_rtc_back_len168_factors_2_7_6_2_wgs_168_tpt_14_halfLds_dim2_dp_op_CI_CI_sbcc_twdbase6_3step_dirReg_intrinsicReadWrite: ; @fft_rtc_back_len168_factors_2_7_6_2_wgs_168_tpt_14_halfLds_dim2_dp_op_CI_CI_sbcc_twdbase6_3step_dirReg_intrinsicReadWrite
; %bb.0:
	s_load_dwordx2 s[12:13], s[0:1], 0x0
	s_load_dwordx4 s[8:11], s[0:1], 0x10
	s_load_dwordx4 s[4:7], s[0:1], 0x58
	s_load_dwordx2 s[14:15], s[0:1], 0x20
	s_movk_i32 s3, 0xc0
	v_cmp_gt_u32_e32 vcc, s3, v0
	s_and_saveexec_b64 s[16:17], vcc
	s_cbranch_execz .LBB0_3
; %bb.1:
	s_load_dwordx2 s[0:1], s[0:1], 0x8
	s_movk_i32 s18, 0xff58
	v_mov_b32_e32 v1, 0
	s_mov_b32 s19, -1
	v_lshlrev_b32_e32 v6, 4, v0
	v_lshl_add_u64 v[2:3], v[0:1], 0, s[18:19]
	v_mov_b32_e32 v7, v1
	v_add_u32_e32 v1, 0, v6
	s_waitcnt lgkmcnt(0)
	v_lshl_add_u64 v[4:5], s[0:1], 0, v[6:7]
	v_add_u32_e32 v1, 0x3f00, v1
	s_mov_b64 s[0:1], 0
	s_mov_b64 s[18:19], 0xa8
	;; [unrolled: 1-line block ×3, first 2 shown]
.LBB0_2:                                ; =>This Inner Loop Header: Depth=1
	global_load_dwordx4 v[6:9], v[4:5], off
	v_lshl_add_u64 v[2:3], v[2:3], 0, s[18:19]
	v_cmp_lt_u64_e32 vcc, 23, v[2:3]
	v_lshl_add_u64 v[4:5], v[4:5], 0, s[20:21]
	s_or_b64 s[0:1], vcc, s[0:1]
	s_waitcnt vmcnt(0)
	ds_write2_b64 v1, v[6:7], v[8:9] offset1:1
	v_add_u32_e32 v1, 0xa80, v1
	s_andn2_b64 exec, exec, s[0:1]
	s_cbranch_execnz .LBB0_2
.LBB0_3:
	s_or_b64 exec, exec, s[16:17]
	s_waitcnt lgkmcnt(0)
	s_load_dwordx2 s[0:1], s[8:9], 0x8
	s_load_dwordx2 s[16:17], s[10:11], 0x0
	s_mov_b32 s3, 0
	s_waitcnt lgkmcnt(0)
	s_add_u32 s8, s0, -1
	s_addc_u32 s9, s1, -1
	s_add_u32 s17, 0, 0x55540000
	s_addc_u32 s18, 0, 0x55
	s_add_i32 s18, s18, 0x15555500
	s_mul_hi_u32 s22, s17, -12
	s_sub_i32 s22, s22, s17
	s_mul_i32 s23, s18, -12
	s_mul_i32 s19, s17, -12
	s_add_i32 s22, s22, s23
	s_mul_hi_u32 s20, s18, s19
	s_mul_i32 s21, s18, s19
	s_mul_i32 s24, s17, s22
	s_mul_hi_u32 s19, s17, s19
	s_mul_hi_u32 s23, s17, s22
	s_add_u32 s19, s19, s24
	s_addc_u32 s23, 0, s23
	s_add_u32 s19, s19, s21
	s_mul_hi_u32 s24, s18, s22
	s_addc_u32 s19, s23, s20
	s_addc_u32 s20, s24, 0
	s_mul_i32 s21, s18, s22
	s_add_u32 s19, s19, s21
	v_mov_b32_e32 v1, s19
	s_addc_u32 s20, 0, s20
	v_add_co_u32_e32 v1, vcc, s17, v1
	s_cmp_lg_u64 vcc, 0
	s_addc_u32 s17, s18, s20
	v_readfirstlane_b32 s20, v1
	s_mul_i32 s19, s8, s17
	s_mul_hi_u32 s21, s8, s20
	s_mul_hi_u32 s18, s8, s17
	s_add_u32 s19, s21, s19
	s_addc_u32 s18, 0, s18
	s_mul_hi_u32 s22, s9, s20
	s_mul_i32 s20, s9, s20
	s_add_u32 s19, s19, s20
	s_mul_hi_u32 s21, s9, s17
	s_addc_u32 s18, s18, s22
	s_addc_u32 s19, s21, 0
	s_mul_i32 s17, s9, s17
	s_add_u32 s17, s18, s17
	s_addc_u32 s18, 0, s19
	s_add_u32 s19, s17, 1
	s_addc_u32 s20, s18, 0
	s_add_u32 s21, s17, 2
	s_mul_i32 s23, s18, 12
	s_mul_hi_u32 s24, s17, 12
	s_addc_u32 s22, s18, 0
	s_add_i32 s24, s24, s23
	s_mul_i32 s23, s17, 12
	v_mov_b32_e32 v1, s23
	v_sub_co_u32_e32 v1, vcc, s8, v1
	s_cmp_lg_u64 vcc, 0
	s_subb_u32 s8, s9, s24
	v_subrev_co_u32_e32 v2, vcc, 12, v1
	s_cmp_lg_u64 vcc, 0
	s_subb_u32 s9, s8, 0
	v_readfirstlane_b32 s23, v2
	s_cmp_gt_u32 s23, 11
	s_cselect_b32 s23, -1, 0
	s_cmp_eq_u32 s9, 0
	s_cselect_b32 s9, s23, -1
	s_cmp_lg_u32 s9, 0
	s_cselect_b32 s9, s21, s19
	s_cselect_b32 s19, s22, s20
	v_readfirstlane_b32 s20, v1
	s_cmp_gt_u32 s20, 11
	s_cselect_b32 s20, -1, 0
	s_cmp_eq_u32 s8, 0
	s_cselect_b32 s8, s20, -1
	s_cmp_lg_u32 s8, 0
	s_cselect_b32 s9, s9, s17
	s_cselect_b32 s8, s19, s18
	s_add_u32 s18, s9, 1
	s_addc_u32 s19, s8, 0
	v_mov_b64_e32 v[2:3], s[18:19]
	v_cmp_lt_u64_e32 vcc, s[2:3], v[2:3]
	s_mov_b64 s[8:9], 0
	s_cbranch_vccnz .LBB0_5
; %bb.4:
	v_cvt_f32_u32_e32 v1, s18
	s_sub_i32 s3, 0, s18
	v_rcp_iflag_f32_e32 v1, v1
	s_nop 0
	v_mul_f32_e32 v1, 0x4f7ffffe, v1
	v_cvt_u32_f32_e32 v1, v1
	s_nop 0
	v_readfirstlane_b32 s8, v1
	s_mul_i32 s3, s3, s8
	s_mul_hi_u32 s3, s8, s3
	s_add_i32 s8, s8, s3
	s_mul_hi_u32 s3, s2, s8
	s_mul_i32 s9, s3, s18
	s_sub_i32 s9, s2, s9
	s_add_i32 s8, s3, 1
	s_sub_i32 s17, s9, s18
	s_cmp_ge_u32 s9, s18
	s_cselect_b32 s3, s8, s3
	s_cselect_b32 s9, s17, s9
	s_add_i32 s8, s3, 1
	s_cmp_ge_u32 s9, s18
	s_cselect_b32 s8, s8, s3
.LBB0_5:
	s_mul_i32 s3, s8, s19
	s_mul_hi_u32 s9, s8, s18
	s_load_dwordx4 s[20:23], s[10:11], 0x8
	s_add_i32 s9, s9, s3
	s_mul_i32 s3, s8, s18
	s_sub_u32 s3, s2, s3
	s_subb_u32 s2, 0, s9
	s_mul_i32 s17, s2, 12
	s_mul_hi_u32 s2, s3, 12
	s_mul_i32 s9, s3, 12
	s_add_i32 s18, s2, s17
	s_waitcnt lgkmcnt(0)
	s_mul_i32 s2, s9, s20
	s_mul_i32 s10, s22, s8
	s_add_u32 s2, s10, s2
	s_mov_b32 s10, 0x15555556
	v_mul_hi_u32 v86, v0, s10
	v_mul_u32_u24_e32 v1, 12, v86
	v_sub_u32_e32 v52, v0, v1
	v_mov_b32_e32 v53, 0
	v_mad_u64_u32 v[50:51], s[10:11], s3, 12, v[52:53]
	s_add_u32 s10, s9, 12
	v_add_u32_e32 v51, s17, v51
	s_addc_u32 s11, s18, 0
	v_mov_b64_e32 v[2:3], s[0:1]
	v_cmp_le_u64_e32 vcc, s[10:11], v[2:3]
	v_mad_u64_u32 v[54:55], s[10:11], s20, v52, 0
	v_cmp_gt_u64_e64 s[0:1], s[0:1], v[50:51]
	v_mov_b64_e32 v[8:9], 0
	s_or_b64 s[10:11], vcc, s[0:1]
	v_mov_b64_e32 v[4:5], v[8:9]
	v_mov_b64_e32 v[2:3], v[8:9]
	s_and_saveexec_b64 s[0:1], s[10:11]
	s_cbranch_execz .LBB0_7
; %bb.6:
	v_mul_lo_u32 v1, s16, v86
	v_add3_u32 v2, s2, v54, v1
	v_mov_b32_e32 v3, v53
	v_lshl_add_u64 v[2:3], v[2:3], 4, s[4:5]
	global_load_dwordx4 v[2:5], v[2:3], off
.LBB0_7:
	s_or_b64 exec, exec, s[0:1]
	v_mov_b64_e32 v[6:7], v[8:9]
	s_and_saveexec_b64 s[0:1], s[10:11]
	s_cbranch_execz .LBB0_9
; %bb.8:
	v_add_u32_e32 v1, 0x54, v86
	v_mul_lo_u32 v1, s16, v1
	v_add3_u32 v6, s2, v54, v1
	v_mov_b32_e32 v7, 0
	v_lshl_add_u64 v[6:7], v[6:7], 4, s[4:5]
	global_load_dwordx4 v[6:9], v[6:7], off
.LBB0_9:
	s_or_b64 exec, exec, s[0:1]
	v_mov_b64_e32 v[16:17], 0
	v_add_u32_e32 v51, 14, v86
	v_mov_b64_e32 v[12:13], v[16:17]
	v_mov_b64_e32 v[10:11], v[16:17]
	s_and_saveexec_b64 s[0:1], s[10:11]
	s_cbranch_execz .LBB0_11
; %bb.10:
	v_mul_lo_u32 v1, s16, v51
	v_add3_u32 v10, s2, v54, v1
	v_mov_b32_e32 v11, 0
	v_lshl_add_u64 v[10:11], v[10:11], 4, s[4:5]
	global_load_dwordx4 v[10:13], v[10:11], off
.LBB0_11:
	s_or_b64 exec, exec, s[0:1]
	v_mov_b64_e32 v[14:15], v[16:17]
	s_and_saveexec_b64 s[0:1], s[10:11]
	s_cbranch_execz .LBB0_13
; %bb.12:
	v_add_u32_e32 v1, 0x62, v86
	v_mul_lo_u32 v1, s16, v1
	v_add3_u32 v14, s2, v54, v1
	v_mov_b32_e32 v15, 0
	v_lshl_add_u64 v[14:15], v[14:15], 4, s[4:5]
	global_load_dwordx4 v[14:17], v[14:15], off
.LBB0_13:
	s_or_b64 exec, exec, s[0:1]
	v_mov_b64_e32 v[24:25], 0
	v_add_u32_e32 v53, 28, v86
	;; [unrolled: 26-line block ×5, first 2 shown]
	v_mov_b64_e32 v[44:45], v[48:49]
	v_mov_b64_e32 v[42:43], v[48:49]
	s_and_saveexec_b64 s[0:1], s[10:11]
	s_cbranch_execz .LBB0_27
; %bb.26:
	v_mul_lo_u32 v1, s16, v89
	v_add3_u32 v42, s2, v54, v1
	v_mov_b32_e32 v43, 0
	v_lshl_add_u64 v[42:43], v[42:43], 4, s[4:5]
	global_load_dwordx4 v[42:45], v[42:43], off
.LBB0_27:
	s_or_b64 exec, exec, s[0:1]
	v_mov_b64_e32 v[46:47], v[48:49]
	s_and_saveexec_b64 s[0:1], s[10:11]
	s_cbranch_execz .LBB0_29
; %bb.28:
	v_add_u32_e32 v1, 0x9a, v86
	v_mul_lo_u32 v1, s16, v1
	v_add3_u32 v46, s2, v54, v1
	v_mov_b32_e32 v47, 0
	v_lshl_add_u64 v[46:47], v[46:47], 4, s[4:5]
	global_load_dwordx4 v[46:49], v[46:47], off
.LBB0_29:
	s_or_b64 exec, exec, s[0:1]
	s_movk_i32 s0, 0xc0
	s_waitcnt vmcnt(0)
	v_add_f64 v[6:7], v[2:3], -v[6:7]
	v_mad_u32_u24 v54, v86, s0, 0
	v_lshlrev_b32_e32 v91, 3, v52
	v_fma_f64 v[2:3], v[2:3], 2.0, -v[6:7]
	v_add_u32_e32 v1, v54, v91
	ds_write2_b64 v1, v[2:3], v[6:7] offset1:12
	v_add_f64 v[2:3], v[10:11], -v[14:15]
	v_fma_f64 v[6:7], v[10:11], 2.0, -v[2:3]
	v_add_u32_e32 v10, 0x800, v1
	ds_write2_b64 v10, v[6:7], v[2:3] offset0:80 offset1:92
	v_add_f64 v[2:3], v[18:19], -v[22:23]
	v_fma_f64 v[6:7], v[18:19], 2.0, -v[2:3]
	v_add_u32_e32 v10, 0x1000, v1
	ds_write2_b64 v10, v[6:7], v[2:3] offset0:160 offset1:172
	;; [unrolled: 4-line block ×3, first 2 shown]
	v_add_f64 v[10:11], v[34:35], -v[38:39]
	v_add_u32_e32 v6, 0x2800, v1
	v_fma_f64 v[26:27], v[34:35], 2.0, -v[10:11]
	v_add_f64 v[18:19], v[42:43], -v[46:47]
	ds_write2_b64 v6, v[26:27], v[10:11] offset0:64 offset1:76
	v_add_u32_e32 v6, 0x3000, v1
	v_fma_f64 v[22:23], v[42:43], 2.0, -v[18:19]
	ds_write2_b64 v6, v[22:23], v[18:19] offset0:144 offset1:156
	s_load_dwordx2 s[4:5], s[14:15], 0x0
	s_load_dwordx4 s[0:3], s[14:15], 0x8
	s_waitcnt lgkmcnt(0)
	s_movk_i32 s1, 0xffa0
	v_mad_i32_i24 v6, v86, s1, v54
	v_add_u32_e32 v90, v6, v91
	s_barrier
	v_lshl_add_u32 v62, v52, 3, v6
	ds_read_b64 v[6:7], v90
	ds_read_b64 v[58:59], v90 offset:2304
	ds_read_b64 v[54:55], v90 offset:4608
	;; [unrolled: 1-line block ×6, first 2 shown]
	s_movk_i32 s1, 0x78
	v_cmp_gt_u32_e32 vcc, s1, v0
	v_add_u32_e32 v60, 0xa80, v1
	v_add_u32_e32 v61, 0x1500, v1
	;; [unrolled: 1-line block ×5, first 2 shown]
                                        ; implicit-def: $vgpr46_vgpr47
                                        ; implicit-def: $vgpr56_vgpr57
	s_and_saveexec_b64 s[14:15], vcc
	s_cbranch_execz .LBB0_31
; %bb.30:
	ds_read_b64 v[26:27], v90 offset:3648
	ds_read_b64 v[10:11], v90 offset:5952
	ds_read_b64 v[22:23], v90 offset:8256
	ds_read_b64 v[18:19], v90 offset:10560
	ds_read_b64 v[56:57], v90 offset:12864
	ds_read_b64 v[2:3], v62 offset:1344
	ds_read_b64 v[46:47], v90 offset:15168
.LBB0_31:
	s_or_b64 exec, exec, s[14:15]
	v_add_f64 v[66:67], v[4:5], -v[8:9]
	v_add_f64 v[14:15], v[28:29], -v[32:33]
	v_fma_f64 v[4:5], v[4:5], 2.0, -v[66:67]
	v_add_f64 v[68:69], v[12:13], -v[16:17]
	v_add_f64 v[24:25], v[20:21], -v[24:25]
	v_fma_f64 v[28:29], v[28:29], 2.0, -v[14:15]
	v_add_f64 v[16:17], v[36:37], -v[40:41]
	v_add_f64 v[8:9], v[44:45], -v[48:49]
	v_fma_f64 v[70:71], v[12:13], 2.0, -v[68:69]
	v_fma_f64 v[72:73], v[20:21], 2.0, -v[24:25]
	v_fma_f64 v[20:21], v[36:37], 2.0, -v[16:17]
	;; [unrolled: 1-line block ×3, first 2 shown]
	s_waitcnt lgkmcnt(0)
	s_barrier
	ds_write2_b64 v1, v[4:5], v[66:67] offset1:12
	ds_write2_b64 v60, v[70:71], v[68:69] offset1:12
	;; [unrolled: 1-line block ×6, first 2 shown]
	s_waitcnt lgkmcnt(0)
	s_barrier
	ds_read_b64 v[4:5], v90
	ds_read_b64 v[60:61], v90 offset:2304
	ds_read_b64 v[48:49], v90 offset:4608
	ds_read_b64 v[44:45], v90 offset:6912
	ds_read_b64 v[32:33], v90 offset:9216
	ds_read_b64 v[28:29], v90 offset:11520
	ds_read_b64 v[24:25], v90 offset:13824
                                        ; implicit-def: $vgpr36_vgpr37
                                        ; implicit-def: $vgpr40_vgpr41
	s_and_saveexec_b64 s[14:15], vcc
	s_cbranch_execz .LBB0_33
; %bb.32:
	ds_read_b64 v[20:21], v90 offset:3648
	ds_read_b64 v[16:17], v90 offset:5952
	;; [unrolled: 1-line block ×7, first 2 shown]
.LBB0_33:
	s_or_b64 exec, exec, s[14:15]
	v_and_b32_e32 v1, 1, v86
	v_mul_u32_u24_e32 v62, 6, v1
	v_lshlrev_b32_e32 v62, 4, v62
	global_load_dwordx4 v[92:95], v62, s[12:13]
	global_load_dwordx4 v[96:99], v62, s[12:13] offset:16
	global_load_dwordx4 v[100:103], v62, s[12:13] offset:32
	;; [unrolled: 1-line block ×5, first 2 shown]
	s_mov_b32 s16, 0x37e14327
	s_mov_b32 s14, 0x36b3c0b5
	;; [unrolled: 1-line block ×20, first 2 shown]
	s_waitcnt lgkmcnt(0)
	s_barrier
	s_waitcnt vmcnt(5)
	v_mul_f64 v[74:75], v[60:61], v[94:95]
	s_waitcnt vmcnt(4)
	v_mul_f64 v[76:77], v[48:49], v[98:99]
	v_mul_f64 v[116:117], v[58:59], v[94:95]
	v_mul_f64 v[62:63], v[20:21], v[94:95]
	s_waitcnt vmcnt(1)
	v_mul_f64 v[82:83], v[28:29], v[110:111]
	s_waitcnt vmcnt(0)
	v_mul_f64 v[84:85], v[24:25], v[114:115]
	v_mul_f64 v[94:95], v[26:27], v[94:95]
	;; [unrolled: 1-line block ×9, first 2 shown]
	v_fmac_f64_e32 v[74:75], v[58:59], v[92:93]
	v_fmac_f64_e32 v[76:77], v[54:55], v[96:97]
	v_fmac_f64_e32 v[82:83], v[34:35], v[108:109]
	v_fmac_f64_e32 v[84:85], v[30:31], v[112:113]
	v_mul_f64 v[120:121], v[42:43], v[102:103]
	v_mul_f64 v[66:67], v[12:13], v[102:103]
	;; [unrolled: 1-line block ×6, first 2 shown]
	v_fma_f64 v[58:59], v[20:21], v[92:93], -v[94:95]
	v_fma_f64 v[20:21], v[48:49], v[96:97], -v[118:119]
	;; [unrolled: 1-line block ×3, first 2 shown]
	v_fmac_f64_e32 v[78:79], v[42:43], v[100:101]
	v_fmac_f64_e32 v[80:81], v[38:39], v[104:105]
	;; [unrolled: 1-line block ×3, first 2 shown]
	v_fma_f64 v[16:17], v[24:25], v[112:113], -v[126:127]
	v_add_f64 v[18:19], v[74:75], v[84:85]
	v_add_f64 v[24:25], v[76:77], v[82:83]
	v_mul_f64 v[70:71], v[40:41], v[110:111]
	v_mul_f64 v[110:111], v[56:57], v[110:111]
	;; [unrolled: 1-line block ×4, first 2 shown]
	v_fma_f64 v[60:61], v[60:61], v[92:93], -v[116:117]
	v_fmac_f64_e32 v[64:65], v[10:11], v[96:97]
	v_fma_f64 v[10:11], v[44:45], v[100:101], -v[120:121]
	v_fma_f64 v[42:43], v[12:13], v[100:101], -v[102:103]
	;; [unrolled: 1-line block ×5, first 2 shown]
	v_add_f64 v[34:35], v[78:79], v[80:81]
	v_add_f64 v[38:39], v[24:25], v[18:19]
	v_fmac_f64_e32 v[62:63], v[26:27], v[92:93]
	v_fmac_f64_e32 v[66:67], v[22:23], v[100:101]
	v_fma_f64 v[28:29], v[40:41], v[108:109], -v[110:111]
	v_fma_f64 v[30:31], v[36:37], v[112:113], -v[114:115]
	v_add_f64 v[22:23], v[60:61], -v[16:17]
	v_add_f64 v[26:27], v[20:21], -v[8:9]
	;; [unrolled: 1-line block ×6, first 2 shown]
	v_add_f64 v[34:35], v[34:35], v[38:39]
	v_fmac_f64_e32 v[72:73], v[46:47], v[112:113]
	v_add_f64 v[44:45], v[36:37], v[26:27]
	v_add_f64 v[46:47], v[36:37], -v[26:27]
	v_add_f64 v[26:27], v[26:27], -v[22:23]
	v_mul_f64 v[18:19], v[18:19], s[16:17]
	v_mul_f64 v[38:39], v[24:25], s[14:15]
	v_add_f64 v[6:7], v[6:7], v[34:35]
	v_add_f64 v[36:37], v[22:23], -v[36:37]
	v_add_f64 v[22:23], v[44:45], v[22:23]
	v_mul_f64 v[44:45], v[46:47], s[22:23]
	v_fma_f64 v[38:39], v[40:41], s[18:19], -v[38:39]
	v_fma_f64 v[40:41], v[40:41], s[20:21], -v[18:19]
	v_fmac_f64_e32 v[18:19], s[14:15], v[24:25]
	v_mul_f64 v[24:25], v[26:27], s[26:27]
	v_fma_f64 v[34:35], s[34:35], v[34:35], v[6:7]
	v_fma_f64 v[26:27], v[26:27], s[26:27], -v[44:45]
	v_fmac_f64_e32 v[44:45], s[24:25], v[36:37]
	v_fma_f64 v[24:25], v[36:37], s[28:29], -v[24:25]
	v_add_f64 v[36:37], v[38:39], v[34:35]
	v_lshrrev_b32_e32 v38, 1, v86
	v_mul_u32_u24_e32 v38, 14, v38
	v_or_b32_e32 v38, v38, v1
	v_add_f64 v[18:19], v[18:19], v[34:35]
	v_add_f64 v[34:35], v[40:41], v[34:35]
	v_fmac_f64_e32 v[44:45], s[30:31], v[22:23]
	v_fmac_f64_e32 v[26:27], s[30:31], v[22:23]
	;; [unrolled: 1-line block ×3, first 2 shown]
	v_mul_u32_u24_e32 v38, 0x60, v38
	v_add_f64 v[22:23], v[36:37], -v[26:27]
	v_add_f64 v[26:27], v[26:27], v[36:37]
	v_add_f64 v[36:37], v[24:25], v[34:35]
	v_add_f64 v[24:25], v[34:35], -v[24:25]
	v_add_f64 v[34:35], v[44:45], v[18:19]
	v_add3_u32 v38, 0, v38, v91
	v_fmac_f64_e32 v[70:71], v[56:57], v[108:109]
	v_add_f64 v[18:19], v[18:19], -v[44:45]
	ds_write2_b64 v38, v[6:7], v[34:35] offset1:24
	ds_write2_b64 v38, v[36:37], v[22:23] offset0:48 offset1:72
	ds_write2_b64 v38, v[26:27], v[24:25] offset0:96 offset1:120
	ds_write_b64 v38, v[18:19] offset:1152
	v_lshrrev_b32_e32 v37, 1, v51
	s_and_saveexec_b64 s[36:37], vcc
	s_cbranch_execz .LBB0_35
; %bb.34:
	v_add_f64 v[6:7], v[66:67], v[68:69]
	v_add_f64 v[18:19], v[64:65], v[70:71]
	;; [unrolled: 1-line block ×3, first 2 shown]
	v_add_f64 v[34:35], v[26:27], -v[6:7]
	v_add_f64 v[40:41], v[18:19], v[26:27]
	v_add_f64 v[22:23], v[6:7], -v[18:19]
	v_mul_f64 v[34:35], v[34:35], s[16:17]
	v_add_f64 v[6:7], v[6:7], v[40:41]
	v_add_f64 v[40:41], v[32:33], -v[42:43]
	v_add_f64 v[44:45], v[48:49], -v[28:29]
	v_add_f64 v[54:55], v[58:59], -v[30:31]
	v_add_f64 v[18:19], v[18:19], -v[26:27]
	v_mul_f64 v[24:25], v[22:23], s[14:15]
	v_fma_f64 v[22:23], s[14:15], v[22:23], v[34:35]
	v_add_f64 v[56:57], v[40:41], -v[44:45]
	v_fma_f64 v[26:27], v[18:19], s[20:21], -v[34:35]
	v_add_f64 v[34:35], v[44:45], -v[54:55]
	v_add_f64 v[2:3], v[2:3], v[6:7]
	v_add_f64 v[46:47], v[40:41], v[44:45]
	v_mul_f64 v[56:57], v[56:57], s[22:23]
	v_add_f64 v[40:41], v[54:55], -v[40:41]
	v_mul_f64 v[44:45], v[34:35], s[26:27]
	v_fma_f64 v[6:7], s[34:35], v[6:7], v[2:3]
	v_add_f64 v[46:47], v[46:47], v[54:55]
	v_fma_f64 v[92:93], s[24:25], v[40:41], v[56:57]
	v_fma_f64 v[40:41], v[40:41], s[28:29], -v[44:45]
	v_add_f64 v[26:27], v[26:27], v[6:7]
	v_fmac_f64_e32 v[40:41], s[30:31], v[46:47]
	v_add_f64 v[44:45], v[26:27], -v[40:41]
	v_fma_f64 v[18:19], v[18:19], s[18:19], -v[24:25]
	v_add_f64 v[24:25], v[40:41], v[26:27]
	v_mul_u32_u24_e32 v26, 14, v37
	v_or_b32_e32 v26, v26, v1
	v_add_f64 v[22:23], v[22:23], v[6:7]
	v_fmac_f64_e32 v[92:93], s[30:31], v[46:47]
	v_fma_f64 v[34:35], v[34:35], s[26:27], -v[56:57]
	v_mul_u32_u24_e32 v26, 0x60, v26
	v_add_f64 v[94:95], v[22:23], -v[92:93]
	v_fmac_f64_e32 v[34:35], s[30:31], v[46:47]
	v_add_f64 v[6:7], v[18:19], v[6:7]
	v_add_f64 v[22:23], v[92:93], v[22:23]
	v_add3_u32 v26, 0, v26, v91
	v_add_f64 v[18:19], v[34:35], v[6:7]
	v_add_f64 v[6:7], v[6:7], -v[34:35]
	ds_write2_b64 v26, v[2:3], v[22:23] offset1:24
	ds_write2_b64 v26, v[24:25], v[6:7] offset0:48 offset1:72
	ds_write2_b64 v26, v[18:19], v[44:45] offset0:96 offset1:120
	ds_write_b64 v26, v[94:95] offset:1152
.LBB0_35:
	s_or_b64 exec, exec, s[36:37]
	v_add_f64 v[2:3], v[60:61], v[16:17]
	v_add_f64 v[8:9], v[20:21], v[8:9]
	v_add_f64 v[16:17], v[76:77], -v[82:83]
	v_add_f64 v[10:11], v[10:11], v[12:13]
	v_add_f64 v[12:13], v[80:81], -v[78:79]
	;; [unrolled: 2-line block ×3, first 2 shown]
	v_add_f64 v[20:21], v[8:9], -v[2:3]
	v_add_f64 v[2:3], v[2:3], -v[10:11]
	;; [unrolled: 1-line block ×4, first 2 shown]
	v_add_f64 v[10:11], v[10:11], v[18:19]
	v_add_f64 v[22:23], v[12:13], v[16:17]
	v_add_f64 v[12:13], v[6:7], -v[12:13]
	v_add_f64 v[16:17], v[16:17], -v[6:7]
	v_add_f64 v[40:41], v[4:5], v[10:11]
	v_mul_f64 v[2:3], v[2:3], s[16:17]
	v_mul_f64 v[4:5], v[8:9], s[14:15]
	;; [unrolled: 1-line block ×3, first 2 shown]
	v_add_f64 v[6:7], v[22:23], v[6:7]
	v_fma_f64 v[10:11], s[34:35], v[10:11], v[40:41]
	v_fma_f64 v[4:5], v[20:21], s[18:19], -v[4:5]
	v_fma_f64 v[20:21], v[20:21], s[20:21], -v[2:3]
	v_fmac_f64_e32 v[2:3], s[14:15], v[8:9]
	v_fma_f64 v[8:9], v[16:17], s[26:27], -v[18:19]
	v_fmac_f64_e32 v[18:19], s[24:25], v[12:13]
	v_mul_f64 v[22:23], v[16:17], s[26:27]
	v_add_f64 v[2:3], v[2:3], v[10:11]
	v_fmac_f64_e32 v[18:19], s[30:31], v[6:7]
	v_fma_f64 v[12:13], v[12:13], s[28:29], -v[22:23]
	v_add_f64 v[44:45], v[2:3], -v[18:19]
	v_add_f64 v[74:75], v[18:19], v[2:3]
	v_mul_u32_u24_e32 v2, 0x60, v53
	v_add_f64 v[4:5], v[4:5], v[10:11]
	v_add_f64 v[10:11], v[20:21], v[10:11]
	v_fmac_f64_e32 v[8:9], s[30:31], v[6:7]
	v_fmac_f64_e32 v[12:13], s[30:31], v[6:7]
	v_add3_u32 v83, 0, v2, v91
	v_add_u32_e32 v36, 0x1800, v90
	v_add_u32_e32 v34, 0x2400, v90
	;; [unrolled: 1-line block ×3, first 2 shown]
	v_add_f64 v[46:47], v[10:11], -v[12:13]
	v_add_f64 v[54:55], v[8:9], v[4:5]
	v_add_f64 v[56:57], v[4:5], -v[8:9]
	v_add_f64 v[60:61], v[12:13], v[10:11]
	s_waitcnt lgkmcnt(0)
	s_barrier
	ds_read2_b64 v[10:13], v36 offset0:72 offset1:240
	ds_read2_b64 v[2:5], v34 offset0:24 offset1:192
	;; [unrolled: 1-line block ×3, first 2 shown]
	v_add_u32_e32 v85, 0xfffffac0, v83
	ds_read_b64 v[24:25], v83 offset:2688
	ds_read_b64 v[16:17], v85
	ds_read_b64 v[18:19], v90
	ds_read_b64 v[22:23], v90 offset:4032
	ds_read_b64 v[26:27], v83
	ds_read_b64 v[20:21], v90 offset:14784
	v_add_u32_e32 v84, 0xa80, v83
	s_waitcnt lgkmcnt(0)
	s_barrier
	ds_write2_b64 v38, v[40:41], v[44:45] offset1:24
	ds_write2_b64 v38, v[46:47], v[54:55] offset0:48 offset1:72
	ds_write2_b64 v38, v[56:57], v[60:61] offset0:96 offset1:120
	ds_write_b64 v38, v[74:75] offset:1152
	s_and_saveexec_b64 s[14:15], vcc
	s_cbranch_execz .LBB0_37
; %bb.36:
	v_add_f64 v[30:31], v[58:59], v[30:31]
	v_add_f64 v[28:29], v[48:49], v[28:29]
	v_add_f64 v[32:33], v[42:43], v[32:33]
	v_add_f64 v[44:45], v[28:29], v[30:31]
	v_add_f64 v[46:47], v[28:29], -v[30:31]
	v_add_f64 v[30:31], v[30:31], -v[32:33]
	;; [unrolled: 1-line block ×3, first 2 shown]
	v_add_f64 v[32:33], v[32:33], v[44:45]
	v_mul_f64 v[30:31], v[30:31], s[16:17]
	s_mov_b32 s16, 0x36b3c0b5
	s_mov_b32 s20, 0xaaaaaaaa
	v_add_f64 v[40:41], v[64:65], -v[70:71]
	v_add_f64 v[42:43], v[68:69], -v[66:67]
	v_add_f64 v[14:15], v[14:15], v[32:33]
	s_mov_b32 s17, 0x3fac98ee
	s_mov_b32 s18, 0xe976ee23
	;; [unrolled: 1-line block ×3, first 2 shown]
	v_add_f64 v[38:39], v[62:63], -v[72:73]
	v_add_f64 v[48:49], v[42:43], v[40:41]
	v_add_f64 v[54:55], v[42:43], -v[40:41]
	v_mul_f64 v[44:45], v[28:29], s[16:17]
	s_mov_b32 s19, 0x3fe11646
	v_fma_f64 v[32:33], s[20:21], v[32:33], v[14:15]
	s_mov_b32 s21, 0x3fe77f67
	s_mov_b32 s20, 0x5476071b
	v_add_f64 v[42:43], v[38:39], -v[42:43]
	v_add_f64 v[40:41], v[40:41], -v[38:39]
	v_add_f64 v[38:39], v[48:49], v[38:39]
	v_mul_f64 v[48:49], v[54:55], s[18:19]
	s_mov_b32 s18, 0x429ad128
	v_fma_f64 v[44:45], v[46:47], s[20:21], -v[44:45]
	s_mov_b32 s21, 0xbfe77f67
	s_mov_b32 s19, 0xbfebfeb5
	v_fma_f64 v[46:47], v[46:47], s[20:21], -v[30:31]
	v_fmac_f64_e32 v[30:31], s[16:17], v[28:29]
	s_mov_b32 s17, 0xbfd5d0dc
	s_mov_b32 s16, 0xb247c609
	v_mul_f64 v[54:55], v[40:41], s[18:19]
	v_fma_f64 v[28:29], v[40:41], s[18:19], -v[48:49]
	v_fmac_f64_e32 v[48:49], s[16:17], v[42:43]
	s_mov_b32 s17, 0x3fd5d0dc
	v_fma_f64 v[40:41], v[42:43], s[16:17], -v[54:55]
	s_mov_b32 s16, 0x37c3f68c
	v_mul_u32_u24_e32 v37, 14, v37
	s_mov_b32 s17, 0xbfdc38aa
	v_or_b32_e32 v1, v37, v1
	v_add_f64 v[30:31], v[30:31], v[32:33]
	v_fmac_f64_e32 v[48:49], s[16:17], v[38:39]
	v_mul_u32_u24_e32 v1, 0x60, v1
	v_add_f64 v[42:43], v[44:45], v[32:33]
	v_add_f64 v[32:33], v[46:47], v[32:33]
	v_fmac_f64_e32 v[28:29], s[16:17], v[38:39]
	v_fmac_f64_e32 v[40:41], s[16:17], v[38:39]
	v_add_f64 v[38:39], v[30:31], -v[48:49]
	v_add3_u32 v1, 0, v1, v91
	v_add_f64 v[44:45], v[32:33], -v[40:41]
	v_add_f64 v[46:47], v[28:29], v[42:43]
	v_add_f64 v[28:29], v[42:43], -v[28:29]
	v_add_f64 v[32:33], v[40:41], v[32:33]
	v_add_f64 v[30:31], v[48:49], v[30:31]
	ds_write2_b64 v1, v[14:15], v[38:39] offset1:24
	ds_write2_b64 v1, v[44:45], v[46:47] offset0:48 offset1:72
	ds_write2_b64 v1, v[28:29], v[32:33] offset0:96 offset1:120
	ds_write_b64 v1, v[30:31] offset:1152
.LBB0_37:
	s_or_b64 exec, exec, s[14:15]
	s_mov_b32 s1, 0x12492493
	v_mul_hi_u32 v1, v86, s1
	v_mul_u32_u24_e32 v1, 14, v1
	v_sub_u32_e32 v1, v86, v1
	v_mul_u32_u24_e32 v14, 5, v1
	v_mul_hi_u32 v82, v51, s1
	v_lshlrev_b32_e32 v32, 4, v14
	v_mul_u32_u24_e32 v14, 14, v82
	s_waitcnt lgkmcnt(0)
	s_barrier
	global_load_dwordx4 v[28:31], v32, s[12:13] offset:192
	global_load_dwordx4 v[38:41], v32, s[12:13] offset:208
	v_sub_u32_e32 v118, v51, v14
	v_mov_b32_e32 v55, 0
	v_mul_i32_i24_e32 v54, 5, v118
	global_load_dwordx4 v[42:45], v32, s[12:13] offset:224
	v_lshl_add_u64 v[14:15], v[54:55], 4, s[12:13]
	global_load_dwordx4 v[46:49], v[14:15], off offset:208
	global_load_dwordx4 v[56:59], v32, s[12:13] offset:240
	global_load_dwordx4 v[60:63], v[14:15], off offset:192
	global_load_dwordx4 v[64:67], v32, s[12:13] offset:256
	global_load_dwordx4 v[68:71], v[14:15], off offset:224
	global_load_dwordx4 v[72:75], v[14:15], off offset:240
	;; [unrolled: 1-line block ×3, first 2 shown]
	ds_read2_b64 v[92:95], v36 offset0:72 offset1:240
	ds_read_b64 v[14:15], v84
	ds_read_b64 v[36:37], v85
	;; [unrolled: 1-line block ×4, first 2 shown]
	ds_read_b64 v[102:103], v90 offset:14784
	ds_read_b64 v[104:105], v90 offset:4032
	ds_read2_b64 v[96:99], v34 offset0:24 offset1:192
	ds_read2_b64 v[32:35], v35 offset0:40 offset1:208
	s_mov_b32 s16, 0xe8584caa
	s_mov_b32 s17, 0xbfebb67a
	s_mov_b32 s15, 0x3febb67a
	s_mov_b32 s14, s16
	s_mov_b32 s1, 0x1861862
	v_mul_hi_u32 v0, v0, s1
	s_movk_i32 s1, 0x54
	v_mad_u32_u24 v0, v0, s1, v1
	v_mul_i32_i24_e32 v0, 0x60, v0
	s_waitcnt lgkmcnt(0)
	s_barrier
	v_add_u32_e32 v54, 0x1e00, v90
	s_waitcnt vmcnt(9)
	v_mul_f64 v[106:107], v[100:101], v[30:31]
	v_mul_f64 v[30:31], v[26:27], v[30:31]
	s_waitcnt vmcnt(8)
	v_mul_f64 v[108:109], v[14:15], v[40:41]
	v_mul_f64 v[40:41], v[24:25], v[40:41]
	s_waitcnt vmcnt(5)
	v_mul_f64 v[114:115], v[98:99], v[58:59]
	v_mul_f64 v[110:111], v[94:95], v[44:45]
	s_waitcnt vmcnt(4)
	v_mul_f64 v[116:117], v[104:105], v[62:63]
	v_fmac_f64_e32 v[106:107], v[26:27], v[28:29]
	v_mul_f64 v[26:27], v[22:23], v[62:63]
	v_fma_f64 v[28:29], v[100:101], v[28:29], -v[30:31]
	v_mul_f64 v[30:31], v[4:5], v[58:59]
	s_waitcnt vmcnt(3)
	v_mul_f64 v[58:59], v[34:35], v[66:67]
	v_mul_f64 v[62:63], v[8:9], v[66:67]
	v_fmac_f64_e32 v[108:109], v[24:25], v[38:39]
	v_fma_f64 v[14:15], v[14:15], v[38:39], -v[40:41]
	v_fmac_f64_e32 v[114:115], v[4:5], v[56:57]
	v_mul_f64 v[44:45], v[12:13], v[44:45]
	s_waitcnt vmcnt(1)
	v_mul_f64 v[40:41], v[32:33], v[74:75]
	v_mul_f64 v[66:67], v[6:7], v[74:75]
	v_fmac_f64_e32 v[110:111], v[12:13], v[42:43]
	v_fma_f64 v[4:5], v[98:99], v[56:57], -v[30:31]
	v_fmac_f64_e32 v[58:59], v[8:9], v[64:65]
	v_fma_f64 v[8:9], v[34:35], v[64:65], -v[62:63]
	v_add_f64 v[30:31], v[108:109], v[114:115]
	v_add_f64 v[34:35], v[80:81], v[14:15]
	v_mul_f64 v[24:25], v[96:97], v[70:71]
	v_mul_f64 v[38:39], v[2:3], v[70:71]
	v_fma_f64 v[12:13], v[94:95], v[42:43], -v[44:45]
	v_fmac_f64_e32 v[116:117], v[22:23], v[60:61]
	v_fma_f64 v[22:23], v[104:105], v[60:61], -v[26:27]
	v_fmac_f64_e32 v[40:41], v[6:7], v[72:73]
	v_fma_f64 v[6:7], v[32:33], v[72:73], -v[66:67]
	v_add_f64 v[26:27], v[18:19], v[108:109]
	v_add_f64 v[32:33], v[14:15], -v[4:5]
	v_add_f64 v[14:15], v[14:15], v[4:5]
	v_fmac_f64_e32 v[18:19], -0.5, v[30:31]
	v_add_f64 v[4:5], v[34:35], v[4:5]
	v_add_f64 v[34:35], v[110:111], v[58:59]
	v_fmac_f64_e32 v[24:25], v[2:3], v[68:69]
	v_fma_f64 v[2:3], v[96:97], v[68:69], -v[38:39]
	v_add_f64 v[38:39], v[108:109], -v[114:115]
	v_fmac_f64_e32 v[80:81], -0.5, v[14:15]
	v_fma_f64 v[14:15], s[16:17], v[32:33], v[18:19]
	v_fmac_f64_e32 v[18:19], s[14:15], v[32:33]
	v_add_f64 v[32:33], v[106:107], v[110:111]
	v_fmac_f64_e32 v[106:107], -0.5, v[34:35]
	v_add_f64 v[34:35], v[12:13], -v[8:9]
	v_fma_f64 v[30:31], s[14:15], v[38:39], v[80:81]
	v_fmac_f64_e32 v[80:81], s[16:17], v[38:39]
	v_fma_f64 v[38:39], s[16:17], v[34:35], v[106:107]
	v_fmac_f64_e32 v[106:107], s[14:15], v[34:35]
	v_add_f64 v[34:35], v[28:29], v[12:13]
	v_add_f64 v[34:35], v[34:35], v[8:9]
	;; [unrolled: 1-line block ×3, first 2 shown]
	v_fmac_f64_e32 v[28:29], -0.5, v[8:9]
	v_add_f64 v[8:9], v[110:111], -v[58:59]
	s_waitcnt vmcnt(0)
	v_mul_f64 v[42:43], v[102:103], v[78:79]
	v_mul_f64 v[44:45], v[20:21], v[78:79]
	v_fma_f64 v[12:13], s[14:15], v[8:9], v[28:29]
	v_mul_f64 v[112:113], v[92:93], v[48:49]
	v_fmac_f64_e32 v[42:43], v[20:21], v[76:77]
	v_fma_f64 v[20:21], v[102:103], v[76:77], -v[44:45]
	v_mul_f64 v[44:45], v[12:13], s[16:17]
	v_mul_f64 v[12:13], v[12:13], 0.5
	v_mul_f64 v[48:49], v[10:11], v[48:49]
	v_fmac_f64_e32 v[112:113], v[10:11], v[46:47]
	v_fmac_f64_e32 v[12:13], s[14:15], v[38:39]
	v_fma_f64 v[10:11], v[92:93], v[46:47], -v[48:49]
	v_add_f64 v[26:27], v[26:27], v[114:115]
	v_add_f64 v[32:33], v[32:33], v[58:59]
	v_fmac_f64_e32 v[44:45], 0.5, v[38:39]
	v_add_f64 v[38:39], v[30:31], v[12:13]
	v_add_f64 v[12:13], v[30:31], -v[12:13]
	v_add_f64 v[30:31], v[112:113], v[40:41]
	v_fmac_f64_e32 v[28:29], s[16:17], v[8:9]
	v_add_f64 v[8:9], v[26:27], v[32:33]
	v_add_f64 v[62:63], v[4:5], v[34:35]
	v_add_f64 v[26:27], v[26:27], -v[32:33]
	v_add_f64 v[32:33], v[4:5], -v[34:35]
	v_add_f64 v[4:5], v[16:17], v[112:113]
	v_fmac_f64_e32 v[16:17], -0.5, v[30:31]
	v_add_f64 v[30:31], v[10:11], -v[6:7]
	v_fma_f64 v[34:35], s[16:17], v[30:31], v[16:17]
	v_fmac_f64_e32 v[16:17], s[14:15], v[30:31]
	v_add_f64 v[30:31], v[36:37], v[10:11]
	v_add_f64 v[30:31], v[30:31], v[6:7]
	;; [unrolled: 1-line block ×4, first 2 shown]
	v_fmac_f64_e32 v[36:37], -0.5, v[6:7]
	v_add_f64 v[6:7], v[112:113], -v[40:41]
	v_add_f64 v[40:41], v[24:25], v[42:43]
	v_fma_f64 v[10:11], s[14:15], v[6:7], v[36:37]
	v_fmac_f64_e32 v[36:37], s[16:17], v[6:7]
	v_add_f64 v[6:7], v[116:117], v[24:25]
	v_fmac_f64_e32 v[116:117], -0.5, v[40:41]
	v_add_f64 v[40:41], v[2:3], -v[20:21]
	v_add_f64 v[46:47], v[14:15], v[44:45]
	v_add_f64 v[14:15], v[14:15], -v[44:45]
	v_fma_f64 v[44:45], s[16:17], v[40:41], v[116:117]
	v_fmac_f64_e32 v[116:117], s[14:15], v[40:41]
	v_add_f64 v[40:41], v[22:23], v[2:3]
	v_add_f64 v[2:3], v[2:3], v[20:21]
	v_fmac_f64_e32 v[22:23], -0.5, v[2:3]
	v_add_f64 v[2:3], v[24:25], -v[42:43]
	v_add_f64 v[40:41], v[40:41], v[20:21]
	v_fma_f64 v[20:21], s[14:15], v[2:3], v[22:23]
	v_mul_f64 v[24:25], v[20:21], s[16:17]
	v_mul_f64 v[48:49], v[28:29], s[16:17]
	v_add_f64 v[6:7], v[6:7], v[42:43]
	v_fmac_f64_e32 v[24:25], 0.5, v[44:45]
	v_fmac_f64_e32 v[48:49], -0.5, v[106:107]
	v_fmac_f64_e32 v[22:23], s[16:17], v[2:3]
	v_add_f64 v[2:3], v[4:5], v[6:7]
	v_add_f64 v[42:43], v[34:35], v[24:25]
	;; [unrolled: 1-line block ×3, first 2 shown]
	v_add_f64 v[4:5], v[4:5], -v[6:7]
	v_add_f64 v[6:7], v[34:35], -v[24:25]
	v_add_f64 v[24:25], v[30:31], -v[40:41]
	v_add3_u32 v30, 0, v0, v91
	v_add_f64 v[56:57], v[18:19], v[48:49]
	v_add_u32_e32 v31, 0x800, v30
	v_mad_u32_u24 v0, v82, s1, v118
	v_add_f64 v[18:19], v[18:19], -v[48:49]
	v_mul_f64 v[48:49], v[22:23], s[16:17]
	ds_write2_b64 v31, v[56:57], v[26:27] offset0:80 offset1:248
	v_add_u32_e32 v26, 0x1400, v30
	v_mul_i32_i24_e32 v0, 0x60, v0
	v_fmac_f64_e32 v[48:49], -0.5, v[116:117]
	ds_write2_b64 v26, v[14:15], v[18:19] offset0:32 offset1:200
	v_add3_u32 v14, 0, v0, v91
	v_add_f64 v[58:59], v[16:17], v[48:49]
	v_mul_f64 v[20:21], v[20:21], 0.5
	v_add_f64 v[16:17], v[16:17], -v[48:49]
	v_add_u32_e32 v18, 0x1400, v14
	v_fmac_f64_e32 v[20:21], s[14:15], v[44:45]
	ds_write2_b64 v30, v[8:9], v[46:47] offset1:168
	v_add_u32_e32 v15, 0x800, v14
	ds_write2_b64 v18, v[6:7], v[16:17] offset0:32 offset1:200
	v_add_u32_e32 v92, 0x2800, v90
	v_mul_u32_u24_e32 v8, 0x60, v87
	v_add_u32_e32 v16, 0x3400, v90
	v_add_f64 v[68:69], v[10:11], v[20:21]
	v_add_f64 v[20:21], v[10:11], -v[20:21]
	ds_write2_b64 v14, v[2:3], v[42:43] offset1:168
	ds_write2_b64 v15, v[58:59], v[4:5] offset0:80 offset1:248
	s_waitcnt lgkmcnt(0)
	s_barrier
	ds_read2_b64 v[0:3], v54 offset0:48 offset1:216
	ds_read_b64 v[56:57], v90
	ds_read_b64 v[44:45], v83
	ds_read2_b64 v[4:7], v92 offset0:64 offset1:232
	v_add3_u32 v91, 0, v8, v91
	ds_read_b64 v[46:47], v85
	ds_read_b64 v[58:59], v84
	ds_read2_b64 v[8:11], v16 offset0:16 offset1:184
	ds_read_b64 v[48:49], v91
	ds_read_b64 v[60:61], v91 offset:2688
	v_mul_f64 v[28:29], v[28:29], -0.5
	v_mul_f64 v[22:23], v[22:23], -0.5
	v_fmac_f64_e32 v[28:29], s[14:15], v[106:107]
	v_fmac_f64_e32 v[22:23], s[14:15], v[116:117]
	v_add_f64 v[64:65], v[80:81], v[28:29]
	v_add_f64 v[28:29], v[80:81], -v[28:29]
	v_add_f64 v[70:71], v[36:37], v[22:23]
	v_add_f64 v[22:23], v[36:37], -v[22:23]
	s_waitcnt lgkmcnt(0)
	s_barrier
	ds_write2_b64 v30, v[62:63], v[38:39] offset1:168
	ds_write2_b64 v31, v[64:65], v[32:33] offset0:80 offset1:248
	ds_write2_b64 v26, v[12:13], v[28:29] offset0:32 offset1:200
	ds_write2_b64 v14, v[66:67], v[68:69] offset1:168
	ds_write2_b64 v15, v[70:71], v[24:25] offset0:80 offset1:248
	ds_write2_b64 v18, v[20:21], v[22:23] offset0:32 offset1:200
	s_waitcnt lgkmcnt(0)
	s_barrier
	s_and_saveexec_b64 s[14:15], s[10:11]
	s_cbranch_execz .LBB0_39
; %bb.38:
	s_mov_b32 s5, 0x30c30c4
	v_mul_hi_u32 v80, v89, s5
	v_mul_u32_u24_e32 v12, 0x54, v80
	v_mul_hi_u32 v81, v88, s5
	v_sub_u32_e32 v17, v89, v12
	v_mul_u32_u24_e32 v18, 0x54, v81
	v_lshlrev_b32_e32 v12, 4, v17
	v_sub_u32_e32 v18, v88, v18
	global_load_dwordx4 v[12:15], v12, s[12:13] offset:1312
	v_lshlrev_b32_e32 v19, 4, v18
	global_load_dwordx4 v[20:23], v19, s[12:13] offset:1312
	ds_read2_b64 v[24:27], v16 offset0:16 offset1:184
	v_add_u32_e32 v16, 0x54, v17
	v_mul_lo_u32 v17, v17, v50
	v_add_u32_e32 v19, 0x54, v18
	v_mul_lo_u32 v42, v18, v50
	v_mul_lo_u32 v43, v16, v50
	v_lshrrev_b32_e32 v16, 8, v17
	v_and_b32_e32 v18, 63, v17
	v_lshrrev_b32_e32 v17, 2, v17
	s_add_i32 s3, 0, 0x3f00
	v_mul_lo_u32 v74, v19, v50
	v_and_b32_e32 v19, 63, v42
	v_lshrrev_b32_e32 v28, 2, v42
	v_and_b32_e32 v17, 0x3f0, v17
	v_and_b32_e32 v29, 63, v43
	v_lshrrev_b32_e32 v30, 2, v43
	v_and_b32_e32 v16, 0x3f0, v16
	v_lshl_add_u32 v18, v18, 4, 0
	v_and_b32_e32 v31, 63, v74
	v_lshrrev_b32_e32 v32, 2, v74
	v_lshl_add_u32 v33, v19, 4, 0
	v_and_b32_e32 v19, 0x3f0, v28
	v_add_u32_e32 v28, s3, v17
	v_lshl_add_u32 v70, v29, 4, 0
	v_and_b32_e32 v34, 0x3f0, v30
	v_add_u32_e32 v62, s3, v16
	;; [unrolled: 3-line block ×3, first 2 shown]
	ds_read_b128 v[16:19], v18 offset:16128
	ds_read_b128 v[28:31], v28 offset:1024
	v_add_u32_e32 v63, s3, v34
	v_add_u32_e32 v76, s3, v32
	ds_read_b128 v[32:35], v33 offset:16128
	ds_read_b128 v[36:39], v36 offset:1024
	v_mul_hi_u32 v82, v87, s5
	s_waitcnt lgkmcnt(2)
	v_mul_f64 v[40:41], v[18:19], v[30:31]
	v_mul_f64 v[66:67], v[16:17], v[30:31]
	v_fma_f64 v[68:69], v[16:17], v[28:29], -v[40:41]
	v_fmac_f64_e32 v[66:67], v[18:19], v[28:29]
	ds_read_b128 v[28:31], v63 offset:1024
	ds_read_b128 v[16:19], v62 offset:2048
	s_waitcnt lgkmcnt(2)
	v_mul_f64 v[40:41], v[34:35], v[38:39]
	v_mul_f64 v[62:63], v[32:33], v[38:39]
	v_fma_f64 v[64:65], v[32:33], v[36:37], -v[40:41]
	v_fmac_f64_e32 v[62:63], v[34:35], v[36:37]
	ds_read_b128 v[32:35], v70 offset:16128
	v_lshrrev_b32_e32 v36, 8, v43
	v_and_b32_e32 v36, 0x3f0, v36
	v_add_u32_e32 v36, s3, v36
	ds_read_b128 v[36:39], v36 offset:2048
	s_waitcnt lgkmcnt(1)
	v_mul_f64 v[40:41], v[34:35], v[30:31]
	v_mul_f64 v[70:71], v[32:33], v[30:31]
	v_fma_f64 v[72:73], v[32:33], v[28:29], -v[40:41]
	v_fmac_f64_e32 v[70:71], v[34:35], v[28:29]
	v_lshrrev_b32_e32 v28, 8, v42
	v_and_b32_e32 v28, 0x3f0, v28
	v_add_u32_e32 v32, s3, v28
	ds_read_b128 v[28:31], v76 offset:1024
	ds_read_b128 v[32:35], v32 offset:2048
	;; [unrolled: 1-line block ×3, first 2 shown]
	v_lshrrev_b32_e32 v40, 8, v74
	v_and_b32_e32 v40, 0x3f0, v40
	v_add_u32_e32 v40, s3, v40
	ds_read_b128 v[40:43], v40 offset:2048
	s_waitcnt lgkmcnt(1)
	v_mul_f64 v[94:95], v[78:79], v[30:31]
	v_mul_f64 v[74:75], v[76:77], v[30:31]
	v_fma_f64 v[76:77], v[76:77], v[28:29], -v[94:95]
	v_fmac_f64_e32 v[74:75], v[78:79], v[28:29]
	v_mul_u32_u24_e32 v28, 0x54, v82
	v_sub_u32_e32 v93, v87, v28
	v_add_u32_e32 v28, 0x54, v93
	v_mul_lo_u32 v106, v28, v50
	v_and_b32_e32 v28, 63, v106
	v_lshl_add_u32 v102, v28, 4, 0
	v_mul_lo_u32 v124, v53, v50
	s_mul_i32 s5, s0, s9
	s_mul_i32 s2, s2, s8
	s_add_i32 s2, s2, s5
	v_mul_lo_u32 v52, s0, v52
	s_waitcnt vmcnt(1)
	v_mul_f64 v[28:29], v[10:11], v[14:15]
	v_mul_f64 v[14:15], v[26:27], v[14:15]
	v_fma_f64 v[78:79], v[26:27], v[12:13], -v[28:29]
	v_fmac_f64_e32 v[14:15], v[10:11], v[12:13]
	s_waitcnt vmcnt(0)
	v_mul_f64 v[10:11], v[8:9], v[22:23]
	v_mul_f64 v[22:23], v[24:25], v[22:23]
	v_mul_lo_u32 v12, v93, v50
	v_fmac_f64_e32 v[22:23], v[8:9], v[20:21]
	v_lshrrev_b32_e32 v8, 2, v106
	v_lshrrev_b32_e32 v9, 8, v12
	v_and_b32_e32 v8, 0x3f0, v8
	v_and_b32_e32 v9, 0x3f0, v9
	v_add_u32_e32 v8, s3, v8
	v_add_u32_e32 v13, s3, v9
	v_fma_f64 v[26:27], v[24:25], v[20:21], -v[10:11]
	ds_read_b128 v[8:11], v8 offset:1024
	ds_read_b128 v[28:31], v13 offset:2048
	v_and_b32_e32 v13, 63, v12
	v_lshrrev_b32_e32 v12, 2, v12
	v_lshl_add_u32 v13, v13, 4, 0
	v_and_b32_e32 v12, 0x3f0, v12
	v_add_u32_e32 v12, s3, v12
	ds_read_b128 v[94:97], v13 offset:16128
	ds_read_b128 v[98:101], v12 offset:1024
	;; [unrolled: 1-line block ×3, first 2 shown]
	v_lshrrev_b32_e32 v12, 8, v106
	v_and_b32_e32 v12, 0x3f0, v12
	v_add_u32_e32 v12, s3, v12
	ds_read_b128 v[106:109], v12 offset:2048
	s_waitcnt lgkmcnt(1)
	v_mul_f64 v[12:13], v[104:105], v[10:11]
	v_mul_f64 v[114:115], v[102:103], v[10:11]
	v_fma_f64 v[24:25], v[102:103], v[8:9], -v[12:13]
	v_fmac_f64_e32 v[114:115], v[104:105], v[8:9]
	v_mul_f64 v[8:9], v[96:97], v[100:101]
	v_fma_f64 v[116:117], v[94:95], v[98:99], -v[8:9]
	v_lshlrev_b32_e32 v8, 4, v93
	v_add_u32_e32 v93, 0x54, v53
	v_mul_lo_u32 v12, v93, v50
	global_load_dwordx4 v[102:105], v8, s[12:13] offset:1312
	v_and_b32_e32 v8, 63, v12
	v_lshl_add_u32 v13, v8, 4, 0
	v_lshrrev_b32_e32 v8, 2, v12
	v_and_b32_e32 v8, 0x3f0, v8
	v_lshrrev_b32_e32 v9, 8, v124
	v_mul_f64 v[118:119], v[94:95], v[100:101]
	v_add_u32_e32 v8, s3, v8
	v_and_b32_e32 v9, 0x3f0, v9
	v_fmac_f64_e32 v[118:119], v[96:97], v[98:99]
	v_add_u32_e32 v20, s3, v9
	ds_read_b128 v[8:11], v8 offset:1024
	ds_read_b128 v[94:97], v20 offset:2048
	;; [unrolled: 1-line block ×3, first 2 shown]
	v_lshrrev_b32_e32 v12, 8, v12
	v_and_b32_e32 v12, 0x3f0, v12
	v_add_u32_e32 v12, s3, v12
	ds_read_b128 v[110:113], v12 offset:2048
	s_waitcnt lgkmcnt(1)
	v_mul_f64 v[12:13], v[100:101], v[10:11]
	v_mul_f64 v[122:123], v[98:99], v[10:11]
	v_fma_f64 v[120:121], v[98:99], v[8:9], -v[12:13]
	v_fmac_f64_e32 v[122:123], v[100:101], v[8:9]
	v_lshlrev_b32_e32 v8, 4, v53
	global_load_dwordx4 v[98:101], v8, s[12:13] offset:1312
	v_mul_f64 v[8:9], v[70:71], v[38:39]
	v_fma_f64 v[12:13], v[36:37], v[72:73], -v[8:9]
	v_mul_f64 v[8:9], v[72:73], v[38:39]
	v_add_u32_e32 v38, 0xa80, v91
	ds_read_b64 v[38:39], v38
	v_mul_f64 v[10:11], v[66:67], v[18:19]
	v_fma_f64 v[20:21], v[16:17], v[68:69], -v[10:11]
	v_mul_f64 v[18:19], v[68:69], v[18:19]
	v_mul_f64 v[10:11], v[74:75], v[42:43]
	v_fmac_f64_e32 v[8:9], v[36:37], v[70:71]
	v_fmac_f64_e32 v[18:19], v[16:17], v[66:67]
	v_fma_f64 v[36:37], v[40:41], v[76:77], -v[10:11]
	v_mul_f64 v[16:17], v[76:77], v[42:43]
	v_mul_f64 v[10:11], v[62:63], v[34:35]
	;; [unrolled: 1-line block ×3, first 2 shown]
	ds_read_b64 v[34:35], v84
	v_fmac_f64_e32 v[16:17], v[40:41], v[74:75]
	v_fma_f64 v[40:41], v[32:33], v[64:65], -v[10:11]
	v_fmac_f64_e32 v[42:43], v[32:33], v[62:63]
	ds_read_b64 v[62:63], v91
	s_waitcnt lgkmcnt(2)
	v_add_f64 v[32:33], v[38:39], -v[78:79]
	v_add_f64 v[14:15], v[60:61], -v[14:15]
	v_mul_f64 v[10:11], v[14:15], v[8:9]
	v_mul_f64 v[8:9], v[32:33], v[8:9]
	v_fma_f64 v[10:11], v[32:33], v[12:13], -v[10:11]
	v_fmac_f64_e32 v[8:9], v[14:15], v[12:13]
	v_fma_f64 v[12:13], v[38:39], 2.0, -v[32:33]
	v_fma_f64 v[32:33], v[60:61], 2.0, -v[14:15]
	v_mul_f64 v[14:15], v[32:33], v[18:19]
	v_fma_f64 v[14:15], v[12:13], v[20:21], -v[14:15]
	v_mul_f64 v[12:13], v[12:13], v[18:19]
	v_add_f64 v[22:23], v[58:59], -v[22:23]
	v_fmac_f64_e32 v[12:13], v[32:33], v[20:21]
	s_waitcnt lgkmcnt(1)
	v_add_f64 v[20:21], v[34:35], -v[26:27]
	v_mul_f64 v[18:19], v[22:23], v[16:17]
	ds_read_b64 v[60:61], v85
	ds_read_b64 v[76:77], v83
	v_fma_f64 v[18:19], v[20:21], v[36:37], -v[18:19]
	v_mul_f64 v[16:17], v[20:21], v[16:17]
	v_fma_f64 v[20:21], v[34:35], 2.0, -v[20:21]
	ds_read2_b64 v[32:35], v92 offset0:64 offset1:232
	v_fma_f64 v[26:27], v[58:59], 2.0, -v[22:23]
	v_fmac_f64_e32 v[16:17], v[22:23], v[36:37]
	v_mul_f64 v[22:23], v[26:27], v[42:43]
	v_fma_f64 v[22:23], v[20:21], v[40:41], -v[22:23]
	v_mul_f64 v[20:21], v[20:21], v[42:43]
	v_fmac_f64_e32 v[20:21], v[26:27], v[40:41]
	v_mul_f64 v[38:39], v[116:117], v[30:31]
	v_fmac_f64_e32 v[38:39], v[28:29], v[118:119]
	;; [unrolled: 2-line block ×3, first 2 shown]
	s_waitcnt vmcnt(1)
	v_mul_f64 v[26:27], v[6:7], v[104:105]
	s_waitcnt lgkmcnt(0)
	v_fma_f64 v[26:27], v[34:35], v[102:103], -v[26:27]
	v_mul_f64 v[34:35], v[34:35], v[104:105]
	v_fmac_f64_e32 v[34:35], v[6:7], v[102:103]
	v_add_f64 v[6:7], v[62:63], -v[26:27]
	v_mul_f64 v[26:27], v[114:115], v[108:109]
	v_fma_f64 v[36:37], v[106:107], v[24:25], -v[26:27]
	v_lshlrev_b32_e32 v26, 4, v51
	global_load_dwordx4 v[64:67], v26, s[12:13] offset:1312
	v_mul_f64 v[24:25], v[24:25], v[108:109]
	v_add_f64 v[34:35], v[48:49], -v[34:35]
	v_fmac_f64_e32 v[24:25], v[106:107], v[114:115]
	v_mul_f64 v[26:27], v[34:35], v[24:25]
	v_mul_f64 v[24:25], v[6:7], v[24:25]
	v_fma_f64 v[26:27], v[6:7], v[36:37], -v[26:27]
	v_fmac_f64_e32 v[24:25], v[34:35], v[36:37]
	v_fma_f64 v[34:35], v[48:49], 2.0, -v[34:35]
	v_mul_f64 v[36:37], v[118:119], v[30:31]
	v_fma_f64 v[6:7], v[62:63], 2.0, -v[6:7]
	v_fma_f64 v[36:37], v[28:29], v[116:117], -v[36:37]
	v_mul_f64 v[28:29], v[34:35], v[38:39]
	s_waitcnt vmcnt(1)
	v_mul_f64 v[42:43], v[32:33], v[100:101]
	v_fma_f64 v[30:31], v[6:7], v[36:37], -v[28:29]
	v_mul_f64 v[28:29], v[6:7], v[38:39]
	v_mul_f64 v[6:7], v[4:5], v[100:101]
	v_fmac_f64_e32 v[42:43], v[4:5], v[98:99]
	v_lshrrev_b32_e32 v5, 2, v124
	v_and_b32_e32 v4, 63, v124
	v_and_b32_e32 v5, 0x3f0, v5
	v_fma_f64 v[40:41], v[32:33], v[98:99], -v[6:7]
	v_lshl_add_u32 v4, v4, 4, 0
	v_add_u32_e32 v32, s3, v5
	v_fmac_f64_e32 v[28:29], v[34:35], v[36:37]
	ds_read_b128 v[4:7], v4 offset:16128
	ds_read_b128 v[32:35], v32 offset:1024
	v_mul_f64 v[36:37], v[122:123], v[112:113]
	v_fma_f64 v[48:49], v[110:111], v[120:121], -v[36:37]
	v_add_u32_e32 v62, 0x54, v51
	v_mul_lo_u32 v58, v62, v50
	s_waitcnt lgkmcnt(0)
	v_mul_f64 v[36:37], v[6:7], v[34:35]
	v_fma_f64 v[36:37], v[4:5], v[32:33], -v[36:37]
	v_mul_f64 v[4:5], v[4:5], v[34:35]
	v_fmac_f64_e32 v[4:5], v[6:7], v[32:33]
	v_mul_f64 v[6:7], v[4:5], v[96:97]
	v_mul_f64 v[96:97], v[36:37], v[96:97]
	v_fmac_f64_e32 v[96:97], v[94:95], v[4:5]
	v_and_b32_e32 v4, 63, v58
	v_mul_lo_u32 v63, v51, v50
	v_lshl_add_u32 v32, v4, 4, 0
	v_lshrrev_b32_e32 v4, 2, v58
	v_lshrrev_b32_e32 v5, 8, v63
	v_and_b32_e32 v4, 0x3f0, v4
	v_and_b32_e32 v5, 0x3f0, v5
	v_add_u32_e32 v4, s3, v4
	v_add_u32_e32 v33, s3, v5
	v_fma_f64 v[84:85], v[94:95], v[36:37], -v[6:7]
	ds_read_b128 v[4:7], v4 offset:1024
	ds_read_b128 v[68:71], v33 offset:2048
	v_lshlrev_b32_e32 v33, 4, v86
	global_load_dwordx4 v[36:39], v33, s[12:13] offset:1312
	ds_read_b128 v[32:35], v32 offset:16128
	v_lshrrev_b32_e32 v58, 8, v58
	v_and_b32_e32 v58, 0x3f0, v58
	v_add_u32_e32 v58, s3, v58
	ds_read_b128 v[72:75], v58 offset:2048
	s_waitcnt lgkmcnt(1)
	v_mul_f64 v[98:99], v[32:33], v[6:7]
	v_mul_f64 v[58:59], v[34:35], v[6:7]
	v_fmac_f64_e32 v[98:99], v[34:35], v[4:5]
	v_add_f64 v[34:35], v[44:45], -v[42:43]
	v_fma_f64 v[94:95], v[32:33], v[4:5], -v[58:59]
	v_add_f64 v[32:33], v[76:77], -v[40:41]
	v_mul_f64 v[4:5], v[34:35], v[78:79]
	ds_read2_b64 v[40:43], v54 offset0:48 offset1:216
	v_fma_f64 v[6:7], v[32:33], v[48:49], -v[4:5]
	v_mul_f64 v[4:5], v[32:33], v[78:79]
	v_fma_f64 v[44:45], v[44:45], 2.0, -v[34:35]
	v_fmac_f64_e32 v[4:5], v[34:35], v[48:49]
	v_fma_f64 v[32:33], v[76:77], 2.0, -v[32:33]
	v_mul_f64 v[34:35], v[44:45], v[96:97]
	v_fma_f64 v[34:35], v[32:33], v[84:85], -v[34:35]
	v_mul_f64 v[32:33], v[32:33], v[96:97]
	v_fmac_f64_e32 v[32:33], v[44:45], v[84:85]
	v_and_b32_e32 v54, 63, v63
	v_lshrrev_b32_e32 v63, 2, v63
	v_lshl_add_u32 v54, v54, 4, 0
	v_and_b32_e32 v63, 0x3f0, v63
	ds_read_b64 v[58:59], v90
	v_add_u32_e32 v63, s3, v63
	s_waitcnt vmcnt(1)
	v_mul_f64 v[44:45], v[2:3], v[66:67]
	s_waitcnt lgkmcnt(1)
	v_fma_f64 v[44:45], v[42:43], v[64:65], -v[44:45]
	v_mul_f64 v[42:43], v[42:43], v[66:67]
	v_fmac_f64_e32 v[42:43], v[2:3], v[64:65]
	v_add_f64 v[48:49], v[60:61], -v[44:45]
	v_mul_f64 v[44:45], v[98:99], v[74:75]
	v_add_f64 v[2:3], v[46:47], -v[42:43]
	v_mul_f64 v[42:43], v[94:95], v[74:75]
	v_fma_f64 v[76:77], v[72:73], v[94:95], -v[44:45]
	v_fmac_f64_e32 v[42:43], v[72:73], v[98:99]
	ds_read_b128 v[64:67], v54 offset:16128
	ds_read_b128 v[72:75], v63 offset:1024
	v_mul_f64 v[44:45], v[2:3], v[42:43]
	v_fma_f64 v[44:45], v[48:49], v[76:77], -v[44:45]
	v_mul_f64 v[42:43], v[48:49], v[42:43]
	v_fma_f64 v[60:61], v[60:61], 2.0, -v[48:49]
	s_waitcnt lgkmcnt(0)
	v_mul_f64 v[48:49], v[66:67], v[74:75]
	v_fma_f64 v[48:49], v[64:65], v[72:73], -v[48:49]
	v_mul_f64 v[64:65], v[64:65], v[74:75]
	v_fmac_f64_e32 v[42:43], v[2:3], v[76:77]
	v_fmac_f64_e32 v[64:65], v[66:67], v[72:73]
	v_fma_f64 v[2:3], v[46:47], 2.0, -v[2:3]
	v_mul_f64 v[46:47], v[48:49], v[70:71]
	v_mul_f64 v[66:67], v[64:65], v[70:71]
	v_fmac_f64_e32 v[46:47], v[68:69], v[64:65]
	v_fma_f64 v[66:67], v[68:69], v[48:49], -v[66:67]
	v_mul_f64 v[48:49], v[2:3], v[46:47]
	v_mul_f64 v[46:47], v[60:61], v[46:47]
	v_add_u32_e32 v63, 0x54, v86
	v_fmac_f64_e32 v[46:47], v[2:3], v[66:67]
	v_mul_lo_u32 v2, v63, v50
	v_lshrrev_b32_e32 v3, 8, v2
	v_and_b32_e32 v54, 63, v2
	v_lshrrev_b32_e32 v2, 2, v2
	v_and_b32_e32 v3, 0x3f0, v3
	v_and_b32_e32 v2, 0x3f0, v2
	v_add_u32_e32 v3, s3, v3
	v_add_u32_e32 v2, s3, v2
	v_fma_f64 v[48:49], v[60:61], v[66:67], -v[48:49]
	v_lshl_add_u32 v54, v54, 4, 0
	ds_read_b128 v[64:67], v3 offset:2048
	ds_read_b128 v[68:71], v54 offset:16128
	;; [unrolled: 1-line block ×3, first 2 shown]
	v_mul_lo_u32 v50, v86, v50
	v_lshrrev_b32_e32 v2, 8, v50
	v_and_b32_e32 v2, 0x3f0, v2
	v_add_u32_e32 v2, s3, v2
	ds_read_b128 v[76:79], v2 offset:2048
	s_waitcnt lgkmcnt(1)
	v_mul_f64 v[2:3], v[70:71], v[74:75]
	v_fma_f64 v[2:3], v[68:69], v[72:73], -v[2:3]
	v_mul_f64 v[60:61], v[68:69], v[74:75]
	s_waitcnt vmcnt(0)
	v_mul_f64 v[68:69], v[0:1], v[38:39]
	v_mul_f64 v[38:39], v[40:41], v[38:39]
	v_fmac_f64_e32 v[60:61], v[70:71], v[72:73]
	v_fma_f64 v[68:69], v[40:41], v[36:37], -v[68:69]
	v_fmac_f64_e32 v[38:39], v[0:1], v[36:37]
	v_and_b32_e32 v36, 63, v50
	v_lshrrev_b32_e32 v37, 2, v50
	v_mul_f64 v[70:71], v[60:61], v[66:67]
	v_mul_f64 v[0:1], v[2:3], v[66:67]
	v_lshl_add_u32 v36, v36, 4, 0
	v_and_b32_e32 v37, 0x3f0, v37
	v_fma_f64 v[70:71], v[64:65], v[2:3], -v[70:71]
	v_add_f64 v[40:41], v[56:57], -v[38:39]
	v_fmac_f64_e32 v[0:1], v[64:65], v[60:61]
	v_add_u32_e32 v50, s3, v37
	ds_read_b128 v[36:39], v36 offset:16128
	ds_read_b128 v[64:67], v50 offset:1024
	v_add_f64 v[68:69], v[58:59], -v[68:69]
	v_mul_f64 v[2:3], v[40:41], v[0:1]
	v_fma_f64 v[2:3], v[68:69], v[70:71], -v[2:3]
	v_mul_f64 v[0:1], v[68:69], v[0:1]
	v_fma_f64 v[58:59], v[58:59], 2.0, -v[68:69]
	s_waitcnt lgkmcnt(0)
	v_mul_f64 v[68:69], v[38:39], v[66:67]
	v_fma_f64 v[68:69], v[36:37], v[64:65], -v[68:69]
	v_mul_f64 v[36:37], v[36:37], v[66:67]
	v_fmac_f64_e32 v[0:1], v[40:41], v[70:71]
	v_fmac_f64_e32 v[36:37], v[64:65], v[38:39]
	v_fma_f64 v[40:41], v[56:57], 2.0, -v[40:41]
	v_mul_f64 v[56:57], v[78:79], v[68:69]
	v_mul_f64 v[38:39], v[78:79], v[36:37]
	v_fmac_f64_e32 v[56:57], v[76:77], v[36:37]
	v_mul_lo_u32 v50, s4, v86
	v_fma_f64 v[64:65], v[76:77], v[68:69], -v[38:39]
	v_mul_f64 v[36:37], v[40:41], v[56:57]
	v_add3_u32 v54, v52, v50, s2
	v_fma_f64 v[38:39], v[58:59], v[64:65], -v[36:37]
	v_mul_f64 v[36:37], v[58:59], v[56:57]
	v_lshl_add_u64 v[60:61], v[54:55], 4, s[6:7]
	v_fmac_f64_e32 v[36:37], v[40:41], v[64:65]
	global_store_dwordx4 v[60:61], v[36:39], off
	s_nop 1
	v_mul_lo_u32 v36, s4, v63
	v_add3_u32 v54, v52, v36, s2
	v_lshl_add_u64 v[36:37], v[54:55], 4, s[6:7]
	global_store_dwordx4 v[36:37], v[0:3], off
	s_nop 1
	v_mul_lo_u32 v0, s4, v51
	v_add3_u32 v54, v52, v0, s2
	v_lshl_add_u64 v[0:1], v[54:55], 4, s[6:7]
	global_store_dwordx4 v[0:1], v[46:49], off
	v_mul_lo_u32 v0, s4, v62
	v_add3_u32 v54, v52, v0, s2
	v_lshl_add_u64 v[0:1], v[54:55], 4, s[6:7]
	global_store_dwordx4 v[0:1], v[42:45], off
	;; [unrolled: 4-line block ×3, first 2 shown]
	v_mul_lo_u32 v0, s4, v93
	v_add3_u32 v54, v52, v0, s2
	v_lshl_add_u64 v[0:1], v[54:55], 4, s[6:7]
	v_mad_u32_u24 v2, v82, s1, v87
	global_store_dwordx4 v[0:1], v[4:7], off
	v_mul_lo_u32 v0, s4, v2
	v_add3_u32 v54, v52, v0, s2
	v_lshl_add_u64 v[0:1], v[54:55], 4, s[6:7]
	global_store_dwordx4 v[0:1], v[28:31], off
	v_add_u32_e32 v0, 0x54, v2
	v_mul_lo_u32 v0, s4, v0
	v_add3_u32 v54, v52, v0, s2
	v_lshl_add_u64 v[0:1], v[54:55], 4, s[6:7]
	v_mad_u32_u24 v2, v81, s1, v88
	global_store_dwordx4 v[0:1], v[24:27], off
	v_mul_lo_u32 v0, s4, v2
	v_add3_u32 v54, v52, v0, s2
	v_lshl_add_u64 v[0:1], v[54:55], 4, s[6:7]
	global_store_dwordx4 v[0:1], v[20:23], off
	v_add_u32_e32 v0, 0x54, v2
	;; [unrolled: 10-line block ×3, first 2 shown]
	v_mul_lo_u32 v0, s4, v0
	v_add3_u32 v54, v52, v0, s2
	v_lshl_add_u64 v[0:1], v[54:55], 4, s[6:7]
	global_store_dwordx4 v[0:1], v[8:11], off
.LBB0_39:
	s_endpgm
	.section	.rodata,"a",@progbits
	.p2align	6, 0x0
	.amdhsa_kernel fft_rtc_back_len168_factors_2_7_6_2_wgs_168_tpt_14_halfLds_dim2_dp_op_CI_CI_sbcc_twdbase6_3step_dirReg_intrinsicReadWrite
		.amdhsa_group_segment_fixed_size 0
		.amdhsa_private_segment_fixed_size 0
		.amdhsa_kernarg_size 104
		.amdhsa_user_sgpr_count 2
		.amdhsa_user_sgpr_dispatch_ptr 0
		.amdhsa_user_sgpr_queue_ptr 0
		.amdhsa_user_sgpr_kernarg_segment_ptr 1
		.amdhsa_user_sgpr_dispatch_id 0
		.amdhsa_user_sgpr_kernarg_preload_length 0
		.amdhsa_user_sgpr_kernarg_preload_offset 0
		.amdhsa_user_sgpr_private_segment_size 0
		.amdhsa_uses_dynamic_stack 0
		.amdhsa_enable_private_segment 0
		.amdhsa_system_sgpr_workgroup_id_x 1
		.amdhsa_system_sgpr_workgroup_id_y 0
		.amdhsa_system_sgpr_workgroup_id_z 0
		.amdhsa_system_sgpr_workgroup_info 0
		.amdhsa_system_vgpr_workitem_id 0
		.amdhsa_next_free_vgpr 128
		.amdhsa_next_free_sgpr 38
		.amdhsa_accum_offset 128
		.amdhsa_reserve_vcc 1
		.amdhsa_float_round_mode_32 0
		.amdhsa_float_round_mode_16_64 0
		.amdhsa_float_denorm_mode_32 3
		.amdhsa_float_denorm_mode_16_64 3
		.amdhsa_dx10_clamp 1
		.amdhsa_ieee_mode 1
		.amdhsa_fp16_overflow 0
		.amdhsa_tg_split 0
		.amdhsa_exception_fp_ieee_invalid_op 0
		.amdhsa_exception_fp_denorm_src 0
		.amdhsa_exception_fp_ieee_div_zero 0
		.amdhsa_exception_fp_ieee_overflow 0
		.amdhsa_exception_fp_ieee_underflow 0
		.amdhsa_exception_fp_ieee_inexact 0
		.amdhsa_exception_int_div_zero 0
	.end_amdhsa_kernel
	.text
.Lfunc_end0:
	.size	fft_rtc_back_len168_factors_2_7_6_2_wgs_168_tpt_14_halfLds_dim2_dp_op_CI_CI_sbcc_twdbase6_3step_dirReg_intrinsicReadWrite, .Lfunc_end0-fft_rtc_back_len168_factors_2_7_6_2_wgs_168_tpt_14_halfLds_dim2_dp_op_CI_CI_sbcc_twdbase6_3step_dirReg_intrinsicReadWrite
                                        ; -- End function
	.section	.AMDGPU.csdata,"",@progbits
; Kernel info:
; codeLenInByte = 9208
; NumSgprs: 44
; NumVgprs: 128
; NumAgprs: 0
; TotalNumVgprs: 128
; ScratchSize: 0
; MemoryBound: 0
; FloatMode: 240
; IeeeMode: 1
; LDSByteSize: 0 bytes/workgroup (compile time only)
; SGPRBlocks: 5
; VGPRBlocks: 15
; NumSGPRsForWavesPerEU: 44
; NumVGPRsForWavesPerEU: 128
; AccumOffset: 128
; Occupancy: 4
; WaveLimiterHint : 1
; COMPUTE_PGM_RSRC2:SCRATCH_EN: 0
; COMPUTE_PGM_RSRC2:USER_SGPR: 2
; COMPUTE_PGM_RSRC2:TRAP_HANDLER: 0
; COMPUTE_PGM_RSRC2:TGID_X_EN: 1
; COMPUTE_PGM_RSRC2:TGID_Y_EN: 0
; COMPUTE_PGM_RSRC2:TGID_Z_EN: 0
; COMPUTE_PGM_RSRC2:TIDIG_COMP_CNT: 0
; COMPUTE_PGM_RSRC3_GFX90A:ACCUM_OFFSET: 31
; COMPUTE_PGM_RSRC3_GFX90A:TG_SPLIT: 0
	.text
	.p2alignl 6, 3212836864
	.fill 256, 4, 3212836864
	.type	__hip_cuid_2f0e1df32f8c4448,@object ; @__hip_cuid_2f0e1df32f8c4448
	.section	.bss,"aw",@nobits
	.globl	__hip_cuid_2f0e1df32f8c4448
__hip_cuid_2f0e1df32f8c4448:
	.byte	0                               ; 0x0
	.size	__hip_cuid_2f0e1df32f8c4448, 1

	.ident	"AMD clang version 19.0.0git (https://github.com/RadeonOpenCompute/llvm-project roc-6.4.0 25133 c7fe45cf4b819c5991fe208aaa96edf142730f1d)"
	.section	".note.GNU-stack","",@progbits
	.addrsig
	.addrsig_sym __hip_cuid_2f0e1df32f8c4448
	.amdgpu_metadata
---
amdhsa.kernels:
  - .agpr_count:     0
    .args:
      - .actual_access:  read_only
        .address_space:  global
        .offset:         0
        .size:           8
        .value_kind:     global_buffer
      - .address_space:  global
        .offset:         8
        .size:           8
        .value_kind:     global_buffer
      - .actual_access:  read_only
        .address_space:  global
        .offset:         16
        .size:           8
        .value_kind:     global_buffer
      - .actual_access:  read_only
        .address_space:  global
        .offset:         24
        .size:           8
        .value_kind:     global_buffer
      - .actual_access:  read_only
        .address_space:  global
        .offset:         32
        .size:           8
        .value_kind:     global_buffer
      - .offset:         40
        .size:           8
        .value_kind:     by_value
      - .actual_access:  read_only
        .address_space:  global
        .offset:         48
        .size:           8
        .value_kind:     global_buffer
      - .actual_access:  read_only
        .address_space:  global
        .offset:         56
        .size:           8
        .value_kind:     global_buffer
      - .offset:         64
        .size:           4
        .value_kind:     by_value
      - .actual_access:  read_only
        .address_space:  global
        .offset:         72
        .size:           8
        .value_kind:     global_buffer
      - .actual_access:  read_only
        .address_space:  global
        .offset:         80
        .size:           8
        .value_kind:     global_buffer
      - .actual_access:  read_only
        .address_space:  global
        .offset:         88
        .size:           8
        .value_kind:     global_buffer
      - .actual_access:  write_only
        .address_space:  global
        .offset:         96
        .size:           8
        .value_kind:     global_buffer
    .group_segment_fixed_size: 0
    .kernarg_segment_align: 8
    .kernarg_segment_size: 104
    .language:       OpenCL C
    .language_version:
      - 2
      - 0
    .max_flat_workgroup_size: 168
    .name:           fft_rtc_back_len168_factors_2_7_6_2_wgs_168_tpt_14_halfLds_dim2_dp_op_CI_CI_sbcc_twdbase6_3step_dirReg_intrinsicReadWrite
    .private_segment_fixed_size: 0
    .sgpr_count:     44
    .sgpr_spill_count: 0
    .symbol:         fft_rtc_back_len168_factors_2_7_6_2_wgs_168_tpt_14_halfLds_dim2_dp_op_CI_CI_sbcc_twdbase6_3step_dirReg_intrinsicReadWrite.kd
    .uniform_work_group_size: 1
    .uses_dynamic_stack: false
    .vgpr_count:     128
    .vgpr_spill_count: 0
    .wavefront_size: 64
amdhsa.target:   amdgcn-amd-amdhsa--gfx950
amdhsa.version:
  - 1
  - 2
...

	.end_amdgpu_metadata
